;; amdgpu-corpus repo=ROCm/rocFFT kind=compiled arch=gfx1030 opt=O3
	.text
	.amdgcn_target "amdgcn-amd-amdhsa--gfx1030"
	.amdhsa_code_object_version 6
	.protected	fft_rtc_fwd_len1134_factors_2_3_3_3_3_7_wgs_126_tpt_126_dp_op_CI_CI_unitstride_sbrr_R2C_dirReg ; -- Begin function fft_rtc_fwd_len1134_factors_2_3_3_3_3_7_wgs_126_tpt_126_dp_op_CI_CI_unitstride_sbrr_R2C_dirReg
	.globl	fft_rtc_fwd_len1134_factors_2_3_3_3_3_7_wgs_126_tpt_126_dp_op_CI_CI_unitstride_sbrr_R2C_dirReg
	.p2align	8
	.type	fft_rtc_fwd_len1134_factors_2_3_3_3_3_7_wgs_126_tpt_126_dp_op_CI_CI_unitstride_sbrr_R2C_dirReg,@function
fft_rtc_fwd_len1134_factors_2_3_3_3_3_7_wgs_126_tpt_126_dp_op_CI_CI_unitstride_sbrr_R2C_dirReg: ; @fft_rtc_fwd_len1134_factors_2_3_3_3_3_7_wgs_126_tpt_126_dp_op_CI_CI_unitstride_sbrr_R2C_dirReg
; %bb.0:
	s_clause 0x2
	s_load_dwordx4 s[12:15], s[4:5], 0x0
	s_load_dwordx4 s[8:11], s[4:5], 0x58
	;; [unrolled: 1-line block ×3, first 2 shown]
	v_mul_u32_u24_e32 v1, 0x209, v0
	v_mov_b32_e32 v3, 0
	v_add_nc_u32_sdwa v5, s6, v1 dst_sel:DWORD dst_unused:UNUSED_PAD src0_sel:DWORD src1_sel:WORD_1
	v_mov_b32_e32 v1, 0
	v_mov_b32_e32 v6, v3
	v_mov_b32_e32 v2, 0
	s_waitcnt lgkmcnt(0)
	v_cmp_lt_u64_e64 s0, s[14:15], 2
	s_and_b32 vcc_lo, exec_lo, s0
	s_cbranch_vccnz .LBB0_8
; %bb.1:
	s_load_dwordx2 s[0:1], s[4:5], 0x10
	v_mov_b32_e32 v1, 0
	v_mov_b32_e32 v2, 0
	s_add_u32 s2, s18, 8
	s_addc_u32 s3, s19, 0
	s_add_u32 s6, s16, 8
	s_addc_u32 s7, s17, 0
	v_mov_b32_e32 v57, v2
	v_mov_b32_e32 v56, v1
	s_mov_b64 s[22:23], 1
	s_waitcnt lgkmcnt(0)
	s_add_u32 s20, s0, 8
	s_addc_u32 s21, s1, 0
.LBB0_2:                                ; =>This Inner Loop Header: Depth=1
	s_load_dwordx2 s[24:25], s[20:21], 0x0
                                        ; implicit-def: $vgpr60_vgpr61
	s_mov_b32 s0, exec_lo
	s_waitcnt lgkmcnt(0)
	v_or_b32_e32 v4, s25, v6
	v_cmpx_ne_u64_e32 0, v[3:4]
	s_xor_b32 s1, exec_lo, s0
	s_cbranch_execz .LBB0_4
; %bb.3:                                ;   in Loop: Header=BB0_2 Depth=1
	v_cvt_f32_u32_e32 v4, s24
	v_cvt_f32_u32_e32 v7, s25
	s_sub_u32 s0, 0, s24
	s_subb_u32 s26, 0, s25
	v_fmac_f32_e32 v4, 0x4f800000, v7
	v_rcp_f32_e32 v4, v4
	v_mul_f32_e32 v4, 0x5f7ffffc, v4
	v_mul_f32_e32 v7, 0x2f800000, v4
	v_trunc_f32_e32 v7, v7
	v_fmac_f32_e32 v4, 0xcf800000, v7
	v_cvt_u32_f32_e32 v7, v7
	v_cvt_u32_f32_e32 v4, v4
	v_mul_lo_u32 v8, s0, v7
	v_mul_hi_u32 v9, s0, v4
	v_mul_lo_u32 v10, s26, v4
	v_add_nc_u32_e32 v8, v9, v8
	v_mul_lo_u32 v9, s0, v4
	v_add_nc_u32_e32 v8, v8, v10
	v_mul_hi_u32 v10, v4, v9
	v_mul_lo_u32 v11, v4, v8
	v_mul_hi_u32 v12, v4, v8
	v_mul_hi_u32 v13, v7, v9
	v_mul_lo_u32 v9, v7, v9
	v_mul_hi_u32 v14, v7, v8
	v_mul_lo_u32 v8, v7, v8
	v_add_co_u32 v10, vcc_lo, v10, v11
	v_add_co_ci_u32_e32 v11, vcc_lo, 0, v12, vcc_lo
	v_add_co_u32 v9, vcc_lo, v10, v9
	v_add_co_ci_u32_e32 v9, vcc_lo, v11, v13, vcc_lo
	v_add_co_ci_u32_e32 v10, vcc_lo, 0, v14, vcc_lo
	v_add_co_u32 v8, vcc_lo, v9, v8
	v_add_co_ci_u32_e32 v9, vcc_lo, 0, v10, vcc_lo
	v_add_co_u32 v4, vcc_lo, v4, v8
	v_add_co_ci_u32_e32 v7, vcc_lo, v7, v9, vcc_lo
	v_mul_hi_u32 v8, s0, v4
	v_mul_lo_u32 v10, s26, v4
	v_mul_lo_u32 v9, s0, v7
	v_add_nc_u32_e32 v8, v8, v9
	v_mul_lo_u32 v9, s0, v4
	v_add_nc_u32_e32 v8, v8, v10
	v_mul_hi_u32 v10, v4, v9
	v_mul_lo_u32 v11, v4, v8
	v_mul_hi_u32 v12, v4, v8
	v_mul_hi_u32 v13, v7, v9
	v_mul_lo_u32 v9, v7, v9
	v_mul_hi_u32 v14, v7, v8
	v_mul_lo_u32 v8, v7, v8
	v_add_co_u32 v10, vcc_lo, v10, v11
	v_add_co_ci_u32_e32 v11, vcc_lo, 0, v12, vcc_lo
	v_add_co_u32 v9, vcc_lo, v10, v9
	v_add_co_ci_u32_e32 v9, vcc_lo, v11, v13, vcc_lo
	v_add_co_ci_u32_e32 v10, vcc_lo, 0, v14, vcc_lo
	v_add_co_u32 v8, vcc_lo, v9, v8
	v_add_co_ci_u32_e32 v9, vcc_lo, 0, v10, vcc_lo
	v_add_co_u32 v4, vcc_lo, v4, v8
	v_add_co_ci_u32_e32 v11, vcc_lo, v7, v9, vcc_lo
	v_mul_hi_u32 v13, v5, v4
	v_mad_u64_u32 v[9:10], null, v6, v4, 0
	v_mad_u64_u32 v[7:8], null, v5, v11, 0
	;; [unrolled: 1-line block ×3, first 2 shown]
	v_add_co_u32 v4, vcc_lo, v13, v7
	v_add_co_ci_u32_e32 v7, vcc_lo, 0, v8, vcc_lo
	v_add_co_u32 v4, vcc_lo, v4, v9
	v_add_co_ci_u32_e32 v4, vcc_lo, v7, v10, vcc_lo
	v_add_co_ci_u32_e32 v7, vcc_lo, 0, v12, vcc_lo
	v_add_co_u32 v4, vcc_lo, v4, v11
	v_add_co_ci_u32_e32 v9, vcc_lo, 0, v7, vcc_lo
	v_mul_lo_u32 v10, s25, v4
	v_mad_u64_u32 v[7:8], null, s24, v4, 0
	v_mul_lo_u32 v11, s24, v9
	v_sub_co_u32 v7, vcc_lo, v5, v7
	v_add3_u32 v8, v8, v11, v10
	v_sub_nc_u32_e32 v10, v6, v8
	v_subrev_co_ci_u32_e64 v10, s0, s25, v10, vcc_lo
	v_add_co_u32 v11, s0, v4, 2
	v_add_co_ci_u32_e64 v12, s0, 0, v9, s0
	v_sub_co_u32 v13, s0, v7, s24
	v_sub_co_ci_u32_e32 v8, vcc_lo, v6, v8, vcc_lo
	v_subrev_co_ci_u32_e64 v10, s0, 0, v10, s0
	v_cmp_le_u32_e32 vcc_lo, s24, v13
	v_cmp_eq_u32_e64 s0, s25, v8
	v_cndmask_b32_e64 v13, 0, -1, vcc_lo
	v_cmp_le_u32_e32 vcc_lo, s25, v10
	v_cndmask_b32_e64 v14, 0, -1, vcc_lo
	v_cmp_le_u32_e32 vcc_lo, s24, v7
	;; [unrolled: 2-line block ×3, first 2 shown]
	v_cndmask_b32_e64 v15, 0, -1, vcc_lo
	v_cmp_eq_u32_e32 vcc_lo, s25, v10
	v_cndmask_b32_e64 v7, v15, v7, s0
	v_cndmask_b32_e32 v10, v14, v13, vcc_lo
	v_add_co_u32 v13, vcc_lo, v4, 1
	v_add_co_ci_u32_e32 v14, vcc_lo, 0, v9, vcc_lo
	v_cmp_ne_u32_e32 vcc_lo, 0, v10
	v_cndmask_b32_e32 v8, v14, v12, vcc_lo
	v_cndmask_b32_e32 v10, v13, v11, vcc_lo
	v_cmp_ne_u32_e32 vcc_lo, 0, v7
	v_cndmask_b32_e32 v61, v9, v8, vcc_lo
	v_cndmask_b32_e32 v60, v4, v10, vcc_lo
.LBB0_4:                                ;   in Loop: Header=BB0_2 Depth=1
	s_andn2_saveexec_b32 s0, s1
	s_cbranch_execz .LBB0_6
; %bb.5:                                ;   in Loop: Header=BB0_2 Depth=1
	v_cvt_f32_u32_e32 v4, s24
	s_sub_i32 s1, 0, s24
	v_mov_b32_e32 v61, v3
	v_rcp_iflag_f32_e32 v4, v4
	v_mul_f32_e32 v4, 0x4f7ffffe, v4
	v_cvt_u32_f32_e32 v4, v4
	v_mul_lo_u32 v7, s1, v4
	v_mul_hi_u32 v7, v4, v7
	v_add_nc_u32_e32 v4, v4, v7
	v_mul_hi_u32 v4, v5, v4
	v_mul_lo_u32 v7, v4, s24
	v_add_nc_u32_e32 v8, 1, v4
	v_sub_nc_u32_e32 v7, v5, v7
	v_subrev_nc_u32_e32 v9, s24, v7
	v_cmp_le_u32_e32 vcc_lo, s24, v7
	v_cndmask_b32_e32 v7, v7, v9, vcc_lo
	v_cndmask_b32_e32 v4, v4, v8, vcc_lo
	v_cmp_le_u32_e32 vcc_lo, s24, v7
	v_add_nc_u32_e32 v8, 1, v4
	v_cndmask_b32_e32 v60, v4, v8, vcc_lo
.LBB0_6:                                ;   in Loop: Header=BB0_2 Depth=1
	s_or_b32 exec_lo, exec_lo, s0
	v_mul_lo_u32 v4, v61, s24
	v_mul_lo_u32 v9, v60, s25
	s_load_dwordx2 s[0:1], s[6:7], 0x0
	v_mad_u64_u32 v[7:8], null, v60, s24, 0
	s_load_dwordx2 s[24:25], s[2:3], 0x0
	s_add_u32 s22, s22, 1
	s_addc_u32 s23, s23, 0
	s_add_u32 s2, s2, 8
	s_addc_u32 s3, s3, 0
	s_add_u32 s6, s6, 8
	v_add3_u32 v4, v8, v9, v4
	v_sub_co_u32 v5, vcc_lo, v5, v7
	s_addc_u32 s7, s7, 0
	s_add_u32 s20, s20, 8
	v_sub_co_ci_u32_e32 v4, vcc_lo, v6, v4, vcc_lo
	s_addc_u32 s21, s21, 0
	s_waitcnt lgkmcnt(0)
	v_mul_lo_u32 v6, s0, v4
	v_mul_lo_u32 v7, s1, v5
	v_mad_u64_u32 v[1:2], null, s0, v5, v[1:2]
	v_mul_lo_u32 v4, s24, v4
	v_mul_lo_u32 v8, s25, v5
	v_mad_u64_u32 v[56:57], null, s24, v5, v[56:57]
	v_cmp_ge_u64_e64 s0, s[22:23], s[14:15]
	v_add3_u32 v2, v7, v2, v6
	v_add3_u32 v57, v8, v57, v4
	s_and_b32 vcc_lo, exec_lo, s0
	s_cbranch_vccnz .LBB0_9
; %bb.7:                                ;   in Loop: Header=BB0_2 Depth=1
	v_mov_b32_e32 v5, v60
	v_mov_b32_e32 v6, v61
	s_branch .LBB0_2
.LBB0_8:
	v_mov_b32_e32 v57, v2
	v_mov_b32_e32 v61, v6
	;; [unrolled: 1-line block ×4, first 2 shown]
.LBB0_9:
	s_load_dwordx2 s[0:1], s[4:5], 0x28
	v_mul_hi_u32 v3, 0x2082083, v0
	s_lshl_b64 s[4:5], s[14:15], 3
                                        ; implicit-def: $vgpr58
                                        ; implicit-def: $vgpr62
                                        ; implicit-def: $vgpr65
                                        ; implicit-def: $vgpr64
	s_add_u32 s2, s18, s4
	s_addc_u32 s3, s19, s5
	s_waitcnt lgkmcnt(0)
	v_cmp_gt_u64_e32 vcc_lo, s[0:1], v[60:61]
	v_cmp_le_u64_e64 s0, s[0:1], v[60:61]
	s_and_saveexec_b32 s1, s0
	s_xor_b32 s0, exec_lo, s1
; %bb.10:
	v_mul_u32_u24_e32 v1, 0x7e, v3
                                        ; implicit-def: $vgpr3
	v_sub_nc_u32_e32 v58, v0, v1
                                        ; implicit-def: $vgpr0
                                        ; implicit-def: $vgpr1_vgpr2
	v_add_nc_u32_e32 v62, 0x7e, v58
	v_add_nc_u32_e32 v65, 0xfc, v58
	;; [unrolled: 1-line block ×3, first 2 shown]
; %bb.11:
	s_andn2_saveexec_b32 s1, s0
	s_cbranch_execz .LBB0_13
; %bb.12:
	s_add_u32 s4, s16, s4
	s_addc_u32 s5, s17, s5
	v_lshlrev_b64 v[1:2], 4, v[1:2]
	s_load_dwordx2 s[4:5], s[4:5], 0x0
	s_waitcnt lgkmcnt(0)
	v_mul_lo_u32 v6, s5, v60
	v_mul_lo_u32 v7, s4, v61
	v_mad_u64_u32 v[4:5], null, s4, v60, 0
	v_add3_u32 v5, v5, v7, v6
	v_mul_u32_u24_e32 v6, 0x7e, v3
	v_lshlrev_b64 v[3:4], 4, v[4:5]
	v_sub_nc_u32_e32 v58, v0, v6
	v_lshlrev_b32_e32 v36, 4, v58
	v_add_co_u32 v0, s0, s8, v3
	v_add_co_ci_u32_e64 v3, s0, s9, v4, s0
	v_add_nc_u32_e32 v62, 0x7e, v58
	v_add_co_u32 v0, s0, v0, v1
	v_add_co_ci_u32_e64 v1, s0, v3, v2, s0
	v_add_nc_u32_e32 v65, 0xfc, v58
	v_add_co_u32 v8, s0, v0, v36
	v_add_co_ci_u32_e64 v9, s0, 0, v1, s0
	s_clause 0x1
	global_load_dwordx4 v[0:3], v[8:9], off
	global_load_dwordx4 v[4:7], v[8:9], off offset:2016
	v_add_co_u32 v10, s0, 0x800, v8
	v_add_co_ci_u32_e64 v11, s0, 0, v9, s0
	v_add_co_u32 v12, s0, 0x1000, v8
	v_add_co_ci_u32_e64 v13, s0, 0, v9, s0
	;; [unrolled: 2-line block ×7, first 2 shown]
	s_clause 0x6
	global_load_dwordx4 v[8:11], v[10:11], off offset:1984
	global_load_dwordx4 v[12:15], v[12:13], off offset:1952
	;; [unrolled: 1-line block ×7, first 2 shown]
	v_add_nc_u32_e32 v36, 0, v36
	v_add_nc_u32_e32 v64, 0x17a, v58
	s_waitcnt vmcnt(8)
	ds_write_b128 v36, v[0:3]
	s_waitcnt vmcnt(7)
	ds_write_b128 v36, v[4:7] offset:2016
	s_waitcnt vmcnt(6)
	ds_write_b128 v36, v[8:11] offset:4032
	;; [unrolled: 2-line block ×8, first 2 shown]
.LBB0_13:
	s_or_b32 exec_lo, exec_lo, s1
	v_lshlrev_b32_e32 v59, 4, v58
	s_load_dwordx2 s[4:5], s[2:3], 0x0
	s_waitcnt lgkmcnt(0)
	s_barrier
	buffer_gl0_inv
	v_add_nc_u32_e32 v67, 0, v59
	v_lshl_add_u32 v69, v65, 5, 0
	v_lshl_add_u32 v68, v64, 5, 0
	v_cmp_gt_u32_e64 s0, 63, v58
	ds_read_b128 v[0:3], v67 offset:9072
	ds_read_b128 v[8:11], v67
	ds_read_b128 v[12:15], v67 offset:2016
	ds_read_b128 v[16:19], v67 offset:11088
	;; [unrolled: 1-line block ×8, first 2 shown]
	s_waitcnt lgkmcnt(0)
	s_barrier
	buffer_gl0_inv
	v_add_f64 v[40:41], v[8:9], -v[0:1]
	v_add_f64 v[42:43], v[10:11], -v[2:3]
	;; [unrolled: 1-line block ×10, first 2 shown]
	v_fma_f64 v[44:45], v[8:9], 2.0, -v[40:41]
	v_fma_f64 v[46:47], v[10:11], 2.0, -v[42:43]
	;; [unrolled: 1-line block ×8, first 2 shown]
	v_lshl_add_u32 v12, v62, 5, 0
	v_add_nc_u32_e32 v8, v67, v59
	ds_write_b128 v8, v[40:43] offset:16
	ds_write_b128 v12, v[16:19] offset:16
	;; [unrolled: 1-line block ×3, first 2 shown]
	ds_write_b128 v8, v[44:47]
	ds_write_b128 v12, v[48:51]
	;; [unrolled: 1-line block ×4, first 2 shown]
	ds_write_b128 v68, v[32:35] offset:16
	s_and_saveexec_b32 s1, s0
	s_cbranch_execz .LBB0_15
; %bb.14:
	v_fma_f64 v[6:7], v[6:7], 2.0, -v[2:3]
	v_fma_f64 v[4:5], v[4:5], 2.0, -v[0:1]
	ds_write_b128 v8, v[4:7] offset:16128
	ds_write_b128 v8, v[0:3] offset:16144
.LBB0_15:
	s_or_b32 exec_lo, exec_lo, s1
	v_and_b32_e32 v10, 1, v58
	s_waitcnt lgkmcnt(0)
	s_barrier
	buffer_gl0_inv
	v_lshlrev_b32_e32 v63, 4, v64
	v_lshlrev_b32_e32 v4, 5, v10
	;; [unrolled: 1-line block ×4, first 2 shown]
	s_mov_b32 s2, 0xe8584caa
	s_mov_b32 s3, 0x3febb67a
	s_clause 0x1
	global_load_dwordx4 v[6:9], v4, s[12:13]
	global_load_dwordx4 v[14:17], v4, s[12:13] offset:16
	v_sub_nc_u32_e32 v4, v68, v63
	v_sub_nc_u32_e32 v5, v12, v13
	s_mov_b32 s7, 0xbfebb67a
	s_mov_b32 s6, s2
	ds_read_b128 v[18:21], v4
	ds_read_b128 v[22:25], v67 offset:12096
	ds_read_b128 v[26:29], v67 offset:8064
	;; [unrolled: 1-line block ×5, first 2 shown]
	ds_read_b128 v[42:45], v67
	ds_read_b128 v[46:49], v5
	v_lshrrev_b32_e32 v11, 1, v58
	v_sub_nc_u32_e32 v13, 0, v13
	v_cmp_gt_u32_e64 s1, 36, v58
	v_mul_u32_u24_e32 v11, 6, v11
	v_or_b32_e32 v11, v11, v10
	v_lshl_add_u32 v11, v11, 4, 0
	s_waitcnt vmcnt(1) lgkmcnt(7)
	v_mul_f64 v[50:51], v[20:21], v[8:9]
	s_waitcnt vmcnt(0) lgkmcnt(6)
	v_mul_f64 v[52:53], v[24:25], v[16:17]
	v_mul_f64 v[54:55], v[18:19], v[8:9]
	;; [unrolled: 1-line block ×3, first 2 shown]
	s_waitcnt lgkmcnt(5)
	v_mul_f64 v[72:73], v[28:29], v[8:9]
	s_waitcnt lgkmcnt(4)
	v_mul_f64 v[74:75], v[32:33], v[16:17]
	v_mul_f64 v[76:77], v[26:27], v[8:9]
	;; [unrolled: 1-line block ×3, first 2 shown]
	s_waitcnt lgkmcnt(3)
	v_mul_f64 v[80:81], v[36:37], v[8:9]
	s_waitcnt lgkmcnt(2)
	v_mul_f64 v[82:83], v[40:41], v[16:17]
	v_mul_f64 v[8:9], v[34:35], v[8:9]
	;; [unrolled: 1-line block ×3, first 2 shown]
	v_fma_f64 v[18:19], v[18:19], v[6:7], -v[50:51]
	v_fma_f64 v[22:23], v[22:23], v[14:15], -v[52:53]
	v_fma_f64 v[20:21], v[20:21], v[6:7], v[54:55]
	v_fma_f64 v[24:25], v[24:25], v[14:15], v[70:71]
	v_fma_f64 v[26:27], v[26:27], v[6:7], -v[72:73]
	v_fma_f64 v[30:31], v[30:31], v[14:15], -v[74:75]
	v_fma_f64 v[28:29], v[28:29], v[6:7], v[76:77]
	v_fma_f64 v[32:33], v[32:33], v[14:15], v[78:79]
	;; [unrolled: 4-line block ×3, first 2 shown]
	v_lshrrev_b32_e32 v72, 1, v62
	v_sub_nc_u32_e32 v6, v69, v66
	v_lshrrev_b32_e32 v74, 1, v65
	v_and_b32_e32 v8, 0xff, v58
	v_mov_b32_e32 v76, 0xaaab
	v_mul_lo_u32 v92, v72, 6
	ds_read_b128 v[14:17], v6
	v_mul_lo_u32 v93, v74, 6
	v_mul_lo_u16 v77, 0xab, v8
	v_mul_u32_u24_sdwa v95, v65, v76 dst_sel:DWORD dst_unused:UNUSED_PAD src0_sel:WORD_0 src1_sel:DWORD
	v_and_b32_e32 v9, 0xff, v62
	v_add_f64 v[50:51], v[18:19], v[22:23]
	s_waitcnt lgkmcnt(2)
	v_add_f64 v[78:79], v[44:45], v[20:21]
	v_add_f64 v[52:53], v[20:21], v[24:25]
	v_lshrrev_b16 v96, 10, v77
	v_add_f64 v[54:55], v[26:27], v[30:31]
	v_add_f64 v[76:77], v[42:43], v[18:19]
	;; [unrolled: 1-line block ×3, first 2 shown]
	v_add_f64 v[88:89], v[20:21], -v[24:25]
	v_add_f64 v[72:73], v[34:35], v[38:39]
	s_waitcnt lgkmcnt(1)
	v_add_f64 v[80:81], v[46:47], v[26:27]
	v_add_f64 v[74:75], v[36:37], v[40:41]
	;; [unrolled: 1-line block ×3, first 2 shown]
	v_add_f64 v[90:91], v[34:35], -v[38:39]
	v_mul_lo_u16 v94, 0xab, v9
	v_lshrrev_b32_e32 v95, 18, v95
	s_waitcnt lgkmcnt(0)
	v_add_f64 v[84:85], v[14:15], v[34:35]
	v_add_f64 v[86:87], v[16:17], v[36:37]
	v_mov_b32_e32 v7, 5
	v_lshrrev_b16 v94, 10, v94
	s_barrier
	buffer_gl0_inv
	v_fma_f64 v[42:43], v[50:51], -0.5, v[42:43]
	v_add_f64 v[50:51], v[18:19], -v[22:23]
	v_fma_f64 v[44:45], v[52:53], -0.5, v[44:45]
	v_add_f64 v[52:53], v[28:29], -v[32:33]
	;; [unrolled: 2-line block ×4, first 2 shown]
	v_fma_f64 v[72:73], v[72:73], -0.5, v[14:15]
	v_add_f64 v[14:15], v[76:77], v[22:23]
	v_fma_f64 v[74:75], v[74:75], -0.5, v[16:17]
	v_add_f64 v[16:17], v[78:79], v[24:25]
	v_add_f64 v[20:21], v[82:83], v[32:33]
	;; [unrolled: 1-line block ×5, first 2 shown]
	v_fma_f64 v[26:27], v[88:89], s[2:3], v[42:43]
	v_fma_f64 v[30:31], v[88:89], s[6:7], v[42:43]
	;; [unrolled: 1-line block ×9, first 2 shown]
	v_mul_lo_u16 v51, v96, 6
	v_fma_f64 v[44:45], v[90:91], s[6:7], v[74:75]
	v_fma_f64 v[46:47], v[70:71], s[6:7], v[72:73]
	;; [unrolled: 1-line block ×3, first 2 shown]
	v_mul_lo_u16 v52, v94, 6
	v_sub_nc_u16 v97, v58, v51
	v_mul_lo_u16 v53, v95, 6
	v_or_b32_e32 v50, v92, v10
	v_or_b32_e32 v10, v93, v10
	v_sub_nc_u16 v98, v62, v52
	v_lshlrev_b32_sdwa v51, v7, v97 dst_sel:DWORD dst_unused:UNUSED_PAD src0_sel:DWORD src1_sel:BYTE_0
	v_sub_nc_u16 v99, v65, v53
	v_lshl_add_u32 v50, v50, 4, 0
	v_lshl_add_u32 v10, v10, 4, 0
	v_lshlrev_b32_sdwa v52, v7, v98 dst_sel:DWORD dst_unused:UNUSED_PAD src0_sel:DWORD src1_sel:BYTE_0
	ds_write_b128 v11, v[14:17]
	ds_write_b128 v11, v[26:29] offset:32
	ds_write_b128 v11, v[30:33] offset:64
	ds_write_b128 v50, v[18:21]
	ds_write_b128 v50, v[34:37] offset:32
	ds_write_b128 v50, v[38:41] offset:64
	ds_write_b128 v10, v[22:25]
	ds_write_b128 v10, v[42:45] offset:32
	ds_write_b128 v10, v[46:49] offset:64
	s_waitcnt lgkmcnt(0)
	s_barrier
	buffer_gl0_inv
	s_clause 0x1
	global_load_dwordx4 v[14:17], v51, s[12:13] offset:64
	global_load_dwordx4 v[18:21], v51, s[12:13] offset:80
	v_lshlrev_b32_sdwa v10, v7, v99 dst_sel:DWORD dst_unused:UNUSED_PAD src0_sel:DWORD src1_sel:WORD_0
	s_clause 0x3
	global_load_dwordx4 v[22:25], v52, s[12:13] offset:64
	global_load_dwordx4 v[26:29], v52, s[12:13] offset:80
	;; [unrolled: 1-line block ×4, first 2 shown]
	ds_read_b128 v[38:41], v4
	ds_read_b128 v[42:45], v67 offset:12096
	ds_read_b128 v[46:49], v67 offset:8064
	;; [unrolled: 1-line block ×5, first 2 shown]
	ds_read_b128 v[78:81], v5
	ds_read_b128 v[82:85], v67
	s_waitcnt vmcnt(5) lgkmcnt(7)
	v_mul_f64 v[10:11], v[40:41], v[16:17]
	s_waitcnt vmcnt(4) lgkmcnt(6)
	v_mul_f64 v[54:55], v[44:45], v[20:21]
	v_mul_f64 v[16:17], v[38:39], v[16:17]
	v_mul_f64 v[20:21], v[42:43], v[20:21]
	s_waitcnt vmcnt(3) lgkmcnt(5)
	v_mul_f64 v[86:87], v[48:49], v[24:25]
	s_waitcnt vmcnt(2) lgkmcnt(4)
	v_mul_f64 v[88:89], v[52:53], v[28:29]
	v_mul_f64 v[24:25], v[46:47], v[24:25]
	v_mul_f64 v[28:29], v[50:51], v[28:29]
	;; [unrolled: 6-line block ×3, first 2 shown]
	v_fma_f64 v[38:39], v[38:39], v[14:15], -v[10:11]
	v_fma_f64 v[42:43], v[42:43], v[18:19], -v[54:55]
	v_fma_f64 v[40:41], v[40:41], v[14:15], v[16:17]
	v_fma_f64 v[19:20], v[44:45], v[18:19], v[20:21]
	v_fma_f64 v[44:45], v[46:47], v[22:23], -v[86:87]
	v_fma_f64 v[46:47], v[50:51], v[26:27], -v[88:89]
	v_fma_f64 v[21:22], v[48:49], v[22:23], v[24:25]
	v_fma_f64 v[23:24], v[52:53], v[26:27], v[28:29]
	;; [unrolled: 4-line block ×3, first 2 shown]
	ds_read_b128 v[15:18], v6
	v_mov_b32_e32 v10, 0xe38f
	v_mul_lo_u16 v11, v8, 57
	v_mul_lo_u16 v70, v9, 57
	v_mov_b32_e32 v27, 0x120
	v_mov_b32_e32 v14, 4
	v_mul_u32_u24_sdwa v71, v65, v10 dst_sel:DWORD dst_unused:UNUSED_PAD src0_sel:WORD_0 src1_sel:DWORD
	v_lshrrev_b16 v100, 10, v11
	v_lshrrev_b16 v10, 10, v70
	v_mul_u32_u24_sdwa v90, v96, v27 dst_sel:DWORD dst_unused:UNUSED_PAD src0_sel:WORD_0 src1_sel:DWORD
	s_waitcnt lgkmcnt(1)
	v_add_f64 v[72:73], v[82:83], v[38:39]
	v_add_f64 v[34:35], v[38:39], v[42:43]
	v_lshrrev_b32_e32 v11, 20, v71
	v_add_f64 v[36:37], v[40:41], v[19:20]
	v_add_f64 v[70:71], v[84:85], v[40:41]
	;; [unrolled: 1-line block ×3, first 2 shown]
	v_add_f64 v[40:41], v[40:41], -v[19:20]
	v_add_f64 v[50:51], v[21:22], v[23:24]
	v_add_f64 v[74:75], v[80:81], v[21:22]
	;; [unrolled: 1-line block ×3, first 2 shown]
	s_waitcnt lgkmcnt(0)
	v_add_f64 v[88:89], v[15:16], v[25:26]
	v_add_f64 v[54:55], v[30:31], v[32:33]
	v_add_f64 v[38:39], v[38:39], -v[42:43]
	v_add_f64 v[86:87], v[17:18], v[30:31]
	v_add_f64 v[76:77], v[78:79], v[44:45]
	v_add_f64 v[44:45], v[44:45], -v[46:47]
	v_mul_lo_u16 v91, v100, 18
	v_mul_lo_u16 v92, v10, 18
	;; [unrolled: 1-line block ×3, first 2 shown]
	s_barrier
	buffer_gl0_inv
	v_sub_nc_u16 v101, v62, v92
	v_fma_f64 v[34:35], v[34:35], -0.5, v[82:83]
	v_add_f64 v[82:83], v[21:22], -v[23:24]
	v_fma_f64 v[36:37], v[36:37], -0.5, v[84:85]
	v_mul_u32_u24_sdwa v84, v94, v27 dst_sel:DWORD dst_unused:UNUSED_PAD src0_sel:WORD_0 src1_sel:DWORD
	v_fma_f64 v[48:49], v[48:49], -0.5, v[78:79]
	v_add_f64 v[78:79], v[30:31], -v[32:33]
	v_fma_f64 v[50:51], v[50:51], -0.5, v[80:81]
	v_add_f64 v[80:81], v[25:26], -v[28:29]
	v_fma_f64 v[52:53], v[52:53], -0.5, v[15:16]
	v_add_f64 v[22:23], v[74:75], v[23:24]
	v_fma_f64 v[54:55], v[54:55], -0.5, v[17:18]
	v_add_f64 v[18:19], v[70:71], v[19:20]
	v_add_f64 v[16:17], v[72:73], v[42:43]
	;; [unrolled: 1-line block ×5, first 2 shown]
	v_sub_nc_u16 v15, v58, v91
	v_mul_u32_u24_e32 v85, 0x120, v95
	v_sub_nc_u16 v102, v65, v93
	v_lshlrev_b32_sdwa v70, v7, v101 dst_sel:DWORD dst_unused:UNUSED_PAD src0_sel:DWORD src1_sel:BYTE_0
	v_fma_f64 v[28:29], v[40:41], s[2:3], v[34:35]
	v_fma_f64 v[32:33], v[40:41], s[6:7], v[34:35]
	;; [unrolled: 1-line block ×12, first 2 shown]
	v_lshlrev_b32_sdwa v52, v14, v97 dst_sel:DWORD dst_unused:UNUSED_PAD src0_sel:DWORD src1_sel:BYTE_0
	v_lshlrev_b32_sdwa v53, v14, v98 dst_sel:DWORD dst_unused:UNUSED_PAD src0_sel:DWORD src1_sel:BYTE_0
	v_lshlrev_b32_sdwa v54, v14, v99 dst_sel:DWORD dst_unused:UNUSED_PAD src0_sel:DWORD src1_sel:WORD_0
	v_lshlrev_b32_sdwa v55, v7, v15 dst_sel:DWORD dst_unused:UNUSED_PAD src0_sel:DWORD src1_sel:BYTE_0
	v_lshlrev_b32_sdwa v15, v14, v15 dst_sel:DWORD dst_unused:UNUSED_PAD src0_sel:DWORD src1_sel:BYTE_0
	v_add3_u32 v52, 0, v90, v52
	v_add3_u32 v53, 0, v84, v53
	;; [unrolled: 1-line block ×3, first 2 shown]
	ds_write_b128 v52, v[16:19]
	ds_write_b128 v52, v[28:31] offset:96
	ds_write_b128 v52, v[32:35] offset:192
	ds_write_b128 v53, v[20:23]
	ds_write_b128 v53, v[36:39] offset:96
	ds_write_b128 v53, v[40:43] offset:192
	;; [unrolled: 3-line block ×3, first 2 shown]
	s_waitcnt lgkmcnt(0)
	s_barrier
	buffer_gl0_inv
	s_clause 0x1
	global_load_dwordx4 v[16:19], v55, s[12:13] offset:256
	global_load_dwordx4 v[20:23], v55, s[12:13] offset:272
	v_lshlrev_b32_sdwa v36, v7, v102 dst_sel:DWORD dst_unused:UNUSED_PAD src0_sel:DWORD src1_sel:WORD_0
	s_clause 0x3
	global_load_dwordx4 v[24:27], v70, s[12:13] offset:256
	global_load_dwordx4 v[28:31], v70, s[12:13] offset:272
	;; [unrolled: 1-line block ×4, first 2 shown]
	ds_read_b128 v[40:43], v4
	ds_read_b128 v[44:47], v67 offset:12096
	ds_read_b128 v[48:51], v67 offset:8064
	;; [unrolled: 1-line block ×5, first 2 shown]
	ds_read_b128 v[78:81], v5
	ds_read_b128 v[82:85], v67
	s_waitcnt vmcnt(5) lgkmcnt(7)
	v_mul_f64 v[86:87], v[42:43], v[18:19]
	s_waitcnt vmcnt(4) lgkmcnt(6)
	v_mul_f64 v[88:89], v[46:47], v[22:23]
	v_mul_f64 v[18:19], v[40:41], v[18:19]
	v_mul_f64 v[22:23], v[44:45], v[22:23]
	s_waitcnt vmcnt(3) lgkmcnt(5)
	v_mul_f64 v[90:91], v[50:51], v[26:27]
	s_waitcnt vmcnt(2) lgkmcnt(4)
	v_mul_f64 v[92:93], v[54:55], v[30:31]
	v_mul_f64 v[26:27], v[48:49], v[26:27]
	v_mul_f64 v[30:31], v[52:53], v[30:31]
	;; [unrolled: 6-line block ×3, first 2 shown]
	v_fma_f64 v[40:41], v[40:41], v[16:17], -v[86:87]
	v_fma_f64 v[44:45], v[44:45], v[20:21], -v[88:89]
	v_fma_f64 v[42:43], v[42:43], v[16:17], v[18:19]
	v_fma_f64 v[20:21], v[46:47], v[20:21], v[22:23]
	v_fma_f64 v[22:23], v[48:49], v[24:25], -v[90:91]
	v_fma_f64 v[46:47], v[52:53], v[28:29], -v[92:93]
	v_fma_f64 v[24:25], v[50:51], v[24:25], v[26:27]
	v_fma_f64 v[26:27], v[54:55], v[28:29], v[30:31]
	;; [unrolled: 4-line block ×3, first 2 shown]
	v_lshrrev_b16 v50, 1, v65
	v_mov_b32_e32 v51, 0x97b5
	v_mul_lo_u16 v52, v8, 19
	ds_read_b128 v[16:19], v6
	v_mul_lo_u16 v54, v9, 19
	v_mov_b32_e32 v90, 0x360
	v_mul_u32_u24_sdwa v55, v50, v51 dst_sel:DWORD dst_unused:UNUSED_PAD src0_sel:WORD_0 src1_sel:DWORD
	v_lshrrev_b16 v92, 10, v52
	v_mul_u32_u24_e32 v96, 0x360, v11
	v_lshrrev_b16 v93, 10, v54
	s_waitcnt lgkmcnt(1)
	v_add_f64 v[70:71], v[82:83], v[40:41]
	v_add_f64 v[36:37], v[40:41], v[44:45]
	v_lshrrev_b32_e32 v94, 20, v55
	v_add_f64 v[38:39], v[42:43], v[20:21]
	v_add_f64 v[54:55], v[84:85], v[42:43]
	;; [unrolled: 1-line block ×3, first 2 shown]
	v_add_f64 v[42:43], v[42:43], -v[20:21]
	v_add_f64 v[8:9], v[24:25], v[26:27]
	v_add_f64 v[72:73], v[80:81], v[24:25]
	;; [unrolled: 1-line block ×3, first 2 shown]
	v_add_f64 v[40:41], v[40:41], -v[44:45]
	v_add_f64 v[52:53], v[32:33], v[34:35]
	v_add_f64 v[74:75], v[78:79], v[22:23]
	s_waitcnt lgkmcnt(0)
	v_add_f64 v[86:87], v[16:17], v[28:29]
	v_add_f64 v[76:77], v[18:19], v[32:33]
	v_add_f64 v[88:89], v[28:29], -v[30:31]
	v_mul_u32_u24_sdwa v91, v100, v90 dst_sel:DWORD dst_unused:UNUSED_PAD src0_sel:WORD_0 src1_sel:DWORD
	v_mul_u32_u24_sdwa v90, v10, v90 dst_sel:DWORD dst_unused:UNUSED_PAD src0_sel:WORD_0 src1_sel:DWORD
	v_mul_lo_u16 v95, v92, 54
	v_mul_lo_u16 v97, v93, 54
	;; [unrolled: 1-line block ×3, first 2 shown]
	v_add3_u32 v15, 0, v91, v15
	v_fma_f64 v[36:37], v[36:37], -0.5, v[82:83]
	v_add_f64 v[82:83], v[24:25], -v[26:27]
	v_fma_f64 v[38:39], v[38:39], -0.5, v[84:85]
	v_add_f64 v[84:85], v[32:33], -v[34:35]
	;; [unrolled: 2-line block ×3, first 2 shown]
	v_fma_f64 v[80:81], v[8:9], -0.5, v[80:81]
	v_add_f64 v[10:11], v[54:55], v[20:21]
	v_fma_f64 v[50:51], v[50:51], -0.5, v[16:17]
	v_add_f64 v[8:9], v[70:71], v[44:45]
	;; [unrolled: 2-line block ×3, first 2 shown]
	v_add_f64 v[20:21], v[86:87], v[30:31]
	v_add_f64 v[16:17], v[74:75], v[46:47]
	;; [unrolled: 1-line block ×3, first 2 shown]
	v_sub_nc_u16 v95, v58, v95
	v_sub_nc_u16 v55, v62, v97
	;; [unrolled: 1-line block ×3, first 2 shown]
	s_barrier
	buffer_gl0_inv
	v_fma_f64 v[24:25], v[42:43], s[2:3], v[36:37]
	v_fma_f64 v[28:29], v[42:43], s[6:7], v[36:37]
	;; [unrolled: 1-line block ×12, first 2 shown]
	v_lshlrev_b32_sdwa v48, v14, v101 dst_sel:DWORD dst_unused:UNUSED_PAD src0_sel:DWORD src1_sel:BYTE_0
	v_lshlrev_b32_sdwa v49, v14, v102 dst_sel:DWORD dst_unused:UNUSED_PAD src0_sel:DWORD src1_sel:WORD_0
	v_lshlrev_b32_sdwa v50, v7, v95 dst_sel:DWORD dst_unused:UNUSED_PAD src0_sel:DWORD src1_sel:BYTE_0
	v_lshlrev_b32_sdwa v51, v7, v55 dst_sel:DWORD dst_unused:UNUSED_PAD src0_sel:DWORD src1_sel:BYTE_0
	v_lshlrev_b32_sdwa v7, v7, v97 dst_sel:DWORD dst_unused:UNUSED_PAD src0_sel:DWORD src1_sel:WORD_0
	v_add3_u32 v48, 0, v90, v48
	v_add3_u32 v49, 0, v96, v49
	ds_write_b128 v15, v[8:11]
	ds_write_b128 v15, v[24:27] offset:288
	ds_write_b128 v15, v[28:31] offset:576
	ds_write_b128 v48, v[16:19]
	ds_write_b128 v48, v[32:35] offset:288
	ds_write_b128 v48, v[36:39] offset:576
	;; [unrolled: 3-line block ×3, first 2 shown]
	s_waitcnt lgkmcnt(0)
	s_barrier
	buffer_gl0_inv
	s_clause 0x5
	global_load_dwordx4 v[8:11], v50, s[12:13] offset:832
	global_load_dwordx4 v[15:18], v50, s[12:13] offset:848
	;; [unrolled: 1-line block ×6, first 2 shown]
	ds_read_b128 v[35:38], v4
	ds_read_b128 v[39:42], v67 offset:12096
	ds_read_b128 v[43:46], v67 offset:8064
	ds_read_b128 v[47:50], v67 offset:14112
	ds_read_b128 v[51:54], v67 offset:10080
	ds_read_b128 v[70:73], v67 offset:16128
	ds_read_b128 v[74:77], v5
	ds_read_b128 v[78:81], v67
	s_waitcnt vmcnt(3) lgkmcnt(5)
	v_mul_f64 v[84:85], v[45:46], v[21:22]
	v_mul_f64 v[4:5], v[37:38], v[10:11]
	;; [unrolled: 1-line block ×5, first 2 shown]
	s_waitcnt vmcnt(2) lgkmcnt(4)
	v_mul_f64 v[86:87], v[49:50], v[25:26]
	v_mul_f64 v[21:22], v[43:44], v[21:22]
	;; [unrolled: 1-line block ×3, first 2 shown]
	s_waitcnt vmcnt(1) lgkmcnt(3)
	v_mul_f64 v[88:89], v[53:54], v[29:30]
	s_waitcnt vmcnt(0) lgkmcnt(2)
	v_mul_f64 v[90:91], v[72:73], v[33:34]
	v_mul_f64 v[29:30], v[51:52], v[29:30]
	;; [unrolled: 1-line block ×3, first 2 shown]
	v_fma_f64 v[35:36], v[35:36], v[8:9], -v[4:5]
	v_fma_f64 v[39:40], v[39:40], v[15:16], -v[82:83]
	v_fma_f64 v[8:9], v[37:38], v[8:9], v[10:11]
	v_fma_f64 v[10:11], v[41:42], v[15:16], v[17:18]
	v_fma_f64 v[15:16], v[43:44], v[19:20], -v[84:85]
	v_fma_f64 v[37:38], v[47:48], v[23:24], -v[86:87]
	v_fma_f64 v[17:18], v[45:46], v[19:20], v[21:22]
	v_fma_f64 v[21:22], v[49:50], v[23:24], v[25:26]
	;; [unrolled: 4-line block ×3, first 2 shown]
	ds_read_b128 v[4:7], v6
	v_mov_b32_e32 v86, 0xa20
	s_waitcnt lgkmcnt(0)
	s_barrier
	buffer_gl0_inv
	v_mul_u32_u24_sdwa v87, v92, v86 dst_sel:DWORD dst_unused:UNUSED_PAD src0_sel:WORD_0 src1_sel:DWORD
	v_add_f64 v[47:48], v[78:79], v[35:36]
	v_add_f64 v[29:30], v[35:36], v[39:40]
	;; [unrolled: 1-line block ×4, first 2 shown]
	v_add_f64 v[8:9], v[8:9], -v[10:11]
	v_add_f64 v[33:34], v[15:16], v[37:38]
	v_add_f64 v[35:36], v[35:36], -v[39:40]
	v_add_f64 v[41:42], v[17:18], v[21:22]
	v_add_f64 v[51:52], v[74:75], v[15:16]
	;; [unrolled: 1-line block ×6, first 2 shown]
	v_add_f64 v[82:83], v[15:16], -v[37:38]
	v_add_f64 v[72:73], v[4:5], v[19:20]
	v_add_f64 v[84:85], v[19:20], -v[23:24]
	v_add_f64 v[15:16], v[47:48], v[39:40]
	v_fma_f64 v[29:30], v[29:30], -0.5, v[78:79]
	v_fma_f64 v[78:79], v[31:32], -0.5, v[80:81]
	v_add_f64 v[80:81], v[17:18], -v[21:22]
	v_fma_f64 v[74:75], v[33:34], -0.5, v[74:75]
	v_add_f64 v[17:18], v[49:50], v[10:11]
	v_fma_f64 v[41:42], v[41:42], -0.5, v[76:77]
	v_add_f64 v[76:77], v[25:26], -v[27:28]
	v_fma_f64 v[43:44], v[43:44], -0.5, v[4:5]
	v_add_f64 v[25:26], v[70:71], v[27:28]
	v_fma_f64 v[45:46], v[45:46], -0.5, v[6:7]
	v_add_f64 v[19:20], v[51:52], v[37:38]
	v_add_f64 v[21:22], v[53:54], v[21:22]
	;; [unrolled: 1-line block ×3, first 2 shown]
	v_add_nc_u32_e32 v70, v12, v13
	v_fma_f64 v[27:28], v[8:9], s[2:3], v[29:30]
	v_fma_f64 v[31:32], v[8:9], s[6:7], v[29:30]
	;; [unrolled: 1-line block ×12, first 2 shown]
	v_lshlrev_b32_sdwa v45, v14, v95 dst_sel:DWORD dst_unused:UNUSED_PAD src0_sel:DWORD src1_sel:BYTE_0
	v_mul_u32_u24_sdwa v43, v93, v86 dst_sel:DWORD dst_unused:UNUSED_PAD src0_sel:WORD_0 src1_sel:DWORD
	v_lshlrev_b32_sdwa v46, v14, v55 dst_sel:DWORD dst_unused:UNUSED_PAD src0_sel:DWORD src1_sel:BYTE_0
	v_mul_u32_u24_e32 v44, 0xa20, v94
	v_lshlrev_b32_sdwa v14, v14, v97 dst_sel:DWORD dst_unused:UNUSED_PAD src0_sel:DWORD src1_sel:WORD_0
	v_add3_u32 v45, 0, v87, v45
	v_add3_u32 v43, 0, v43, v46
	;; [unrolled: 1-line block ×3, first 2 shown]
	ds_write_b128 v45, v[15:18]
	ds_write_b128 v45, v[27:30] offset:864
	ds_write_b128 v45, v[31:34] offset:1728
	ds_write_b128 v43, v[19:22]
	ds_write_b128 v43, v[35:38] offset:864
	ds_write_b128 v43, v[39:42] offset:1728
	;; [unrolled: 3-line block ×3, first 2 shown]
	s_waitcnt lgkmcnt(0)
	s_barrier
	buffer_gl0_inv
	ds_read_b128 v[28:31], v67
	ds_read_b128 v[48:51], v67 offset:2592
	ds_read_b128 v[44:47], v67 offset:5184
	;; [unrolled: 1-line block ×6, first 2 shown]
                                        ; implicit-def: $vgpr26_vgpr27
                                        ; implicit-def: $vgpr22_vgpr23
                                        ; implicit-def: $vgpr18_vgpr19
                                        ; implicit-def: $vgpr14_vgpr15
	s_and_saveexec_b32 s2, s1
	s_cbranch_execz .LBB0_17
; %bb.16:
	ds_read_b128 v[4:7], v70
	ds_read_b128 v[8:11], v67 offset:4608
	ds_read_b128 v[0:3], v67 offset:7200
	;; [unrolled: 1-line block ×6, first 2 shown]
.LBB0_17:
	s_or_b32 exec_lo, exec_lo, s2
	v_mul_u32_u24_e32 v71, 6, v58
	s_mov_b32 s8, 0x37e14327
	s_mov_b32 s16, 0xe976ee23
	;; [unrolled: 1-line block ×4, first 2 shown]
	v_lshlrev_b32_e32 v71, 4, v71
	s_mov_b32 s6, 0x429ad128
	s_mov_b32 s7, 0x3febfeb5
	;; [unrolled: 1-line block ×4, first 2 shown]
	v_add_co_u32 v71, s2, s12, v71
	v_add_co_ci_u32_e64 v72, null, s13, 0, s2
	s_mov_b32 s15, 0xbff2aaaa
	v_add_co_u32 v83, s2, 0x800, v71
	v_add_co_ci_u32_e64 v84, s2, 0, v72, s2
	v_add_co_u32 v91, s2, 0xa00, v71
	v_add_co_ci_u32_e64 v92, s2, 0, v72, s2
	;; [unrolled: 2-line block ×3, first 2 shown]
	s_clause 0x5
	global_load_dwordx4 v[71:74], v[83:84], off offset:512
	global_load_dwordx4 v[75:78], v[91:92], off offset:16
	;; [unrolled: 1-line block ×6, first 2 shown]
	s_mov_b32 s2, 0x36b3c0b5
	s_mov_b32 s3, 0x3fac98ee
	;; [unrolled: 1-line block ×11, first 2 shown]
	s_waitcnt vmcnt(0) lgkmcnt(0)
	s_barrier
	buffer_gl0_inv
	v_mul_f64 v[95:96], v[50:51], v[73:74]
	v_mul_f64 v[73:74], v[48:49], v[73:74]
	v_mul_f64 v[97:98], v[46:47], v[77:78]
	v_mul_f64 v[77:78], v[44:45], v[77:78]
	v_mul_f64 v[99:100], v[54:55], v[81:82]
	v_mul_f64 v[81:82], v[52:53], v[81:82]
	v_mul_f64 v[101:102], v[42:43], v[85:86]
	v_mul_f64 v[85:86], v[40:41], v[85:86]
	v_mul_f64 v[103:104], v[38:39], v[89:90]
	v_mul_f64 v[89:90], v[36:37], v[89:90]
	v_mul_f64 v[105:106], v[34:35], v[93:94]
	v_mul_f64 v[93:94], v[32:33], v[93:94]
	v_fma_f64 v[48:49], v[48:49], v[71:72], -v[95:96]
	v_fma_f64 v[50:51], v[50:51], v[71:72], v[73:74]
	v_fma_f64 v[44:45], v[44:45], v[75:76], -v[97:98]
	v_fma_f64 v[46:47], v[46:47], v[75:76], v[77:78]
	v_fma_f64 v[52:53], v[52:53], v[79:80], -v[99:100]
	v_fma_f64 v[54:55], v[54:55], v[79:80], v[81:82]
	v_fma_f64 v[40:41], v[40:41], v[83:84], -v[101:102]
	v_fma_f64 v[42:43], v[42:43], v[83:84], v[85:86]
	v_fma_f64 v[36:37], v[36:37], v[87:88], -v[103:104]
	v_fma_f64 v[38:39], v[38:39], v[87:88], v[89:90]
	v_fma_f64 v[32:33], v[32:33], v[91:92], -v[105:106]
	v_fma_f64 v[34:35], v[34:35], v[91:92], v[93:94]
	v_add_f64 v[71:72], v[48:49], v[52:53]
	v_add_f64 v[73:74], v[50:51], v[54:55]
	;; [unrolled: 1-line block ×4, first 2 shown]
	v_add_f64 v[40:41], v[44:45], -v[40:41]
	v_add_f64 v[42:43], v[46:47], -v[42:43]
	v_add_f64 v[44:45], v[36:37], v[32:33]
	v_add_f64 v[46:47], v[38:39], v[34:35]
	v_add_f64 v[32:33], v[32:33], -v[36:37]
	v_add_f64 v[34:35], v[34:35], -v[38:39]
	;; [unrolled: 1-line block ×4, first 2 shown]
	v_add_f64 v[48:49], v[75:76], v[71:72]
	v_add_f64 v[50:51], v[77:78], v[73:74]
	v_add_f64 v[52:53], v[71:72], -v[44:45]
	v_add_f64 v[54:55], v[73:74], -v[46:47]
	;; [unrolled: 1-line block ×6, first 2 shown]
	v_add_f64 v[40:41], v[32:33], v[40:41]
	v_add_f64 v[42:43], v[34:35], v[42:43]
	v_add_f64 v[87:88], v[36:37], -v[32:33]
	v_add_f64 v[89:90], v[38:39], -v[34:35]
	v_add_f64 v[48:49], v[44:45], v[48:49]
	v_add_f64 v[50:51], v[46:47], v[50:51]
	v_add_f64 v[44:45], v[44:45], -v[75:76]
	v_add_f64 v[46:47], v[46:47], -v[77:78]
	v_mul_f64 v[52:53], v[52:53], s[8:9]
	v_mul_f64 v[54:55], v[54:55], s[8:9]
	;; [unrolled: 1-line block ×6, first 2 shown]
	v_add_f64 v[36:37], v[40:41], v[36:37]
	v_add_f64 v[38:39], v[42:43], v[38:39]
	;; [unrolled: 1-line block ×4, first 2 shown]
	v_add_f64 v[28:29], v[75:76], -v[71:72]
	v_add_f64 v[30:31], v[77:78], -v[73:74]
	v_mul_f64 v[71:72], v[44:45], s[2:3]
	v_mul_f64 v[73:74], v[46:47], s[2:3]
	v_fma_f64 v[40:41], v[44:45], s[2:3], v[52:53]
	v_fma_f64 v[42:43], v[46:47], s[2:3], v[54:55]
	;; [unrolled: 1-line block ×4, first 2 shown]
	v_fma_f64 v[75:76], v[83:84], s[6:7], -v[79:80]
	v_fma_f64 v[77:78], v[85:86], s[6:7], -v[81:82]
	;; [unrolled: 1-line block ×4, first 2 shown]
	v_fma_f64 v[48:49], v[48:49], s[14:15], v[32:33]
	v_fma_f64 v[50:51], v[50:51], s[14:15], v[34:35]
	v_fma_f64 v[52:53], v[28:29], s[20:21], -v[52:53]
	v_fma_f64 v[54:55], v[30:31], s[20:21], -v[54:55]
	;; [unrolled: 1-line block ×4, first 2 shown]
	v_fma_f64 v[73:74], v[36:37], s[26:27], v[44:45]
	v_fma_f64 v[71:72], v[38:39], s[26:27], v[46:47]
	;; [unrolled: 1-line block ×6, first 2 shown]
	v_add_f64 v[83:84], v[40:41], v[48:49]
	v_add_f64 v[85:86], v[42:43], v[50:51]
	;; [unrolled: 1-line block ×7, first 2 shown]
	v_add_f64 v[38:39], v[85:86], -v[73:74]
	v_add_f64 v[40:41], v[81:82], v[52:53]
	v_add_f64 v[42:43], v[54:55], -v[79:80]
	v_add_f64 v[44:45], v[28:29], -v[77:78]
	v_add_f64 v[46:47], v[75:76], v[30:31]
	v_add_f64 v[48:49], v[77:78], v[28:29]
	v_add_f64 v[50:51], v[30:31], -v[75:76]
	v_add_f64 v[52:53], v[52:53], -v[81:82]
	v_add_f64 v[54:55], v[79:80], v[54:55]
	v_add_f64 v[71:72], v[83:84], -v[71:72]
	v_add_f64 v[73:74], v[73:74], v[85:86]
	v_mov_b32_e32 v29, 0
	ds_write_b128 v67, v[32:35]
	ds_write_b128 v67, v[36:39] offset:2592
	ds_write_b128 v67, v[40:43] offset:5184
	;; [unrolled: 1-line block ×6, first 2 shown]
	s_and_saveexec_b32 s28, s1
	s_cbranch_execz .LBB0_19
; %bb.18:
	v_subrev_nc_u32_e32 v28, 36, v58
	v_cndmask_b32_e64 v28, v28, v62, s1
	v_mul_i32_i24_e32 v28, 6, v28
	v_lshlrev_b64 v[28:29], 4, v[28:29]
	v_add_co_u32 v28, s1, s12, v28
	v_add_co_ci_u32_e64 v29, s1, s13, v29, s1
	v_add_co_u32 v48, s1, 0xa00, v28
	v_add_co_ci_u32_e64 v49, s1, 0, v29, s1
	;; [unrolled: 2-line block ×4, first 2 shown]
	s_clause 0x5
	global_load_dwordx4 v[28:31], v[48:49], off offset:16
	global_load_dwordx4 v[32:35], v[36:37], off offset:576
	;; [unrolled: 1-line block ×6, first 2 shown]
	s_waitcnt vmcnt(5)
	v_mul_f64 v[52:53], v[0:1], v[30:31]
	s_waitcnt vmcnt(4)
	v_mul_f64 v[54:55], v[20:21], v[34:35]
	;; [unrolled: 2-line block ×4, first 2 shown]
	v_mul_f64 v[30:31], v[2:3], v[30:31]
	v_mul_f64 v[34:35], v[22:23], v[34:35]
	;; [unrolled: 1-line block ×4, first 2 shown]
	s_waitcnt vmcnt(1)
	v_mul_f64 v[75:76], v[18:19], v[46:47]
	s_waitcnt vmcnt(0)
	v_mul_f64 v[77:78], v[14:15], v[50:51]
	v_mul_f64 v[50:51], v[12:13], v[50:51]
	;; [unrolled: 1-line block ×3, first 2 shown]
	v_fma_f64 v[2:3], v[2:3], v[28:29], v[52:53]
	v_fma_f64 v[22:23], v[22:23], v[32:33], v[54:55]
	;; [unrolled: 1-line block ×4, first 2 shown]
	v_fma_f64 v[0:1], v[0:1], v[28:29], -v[30:31]
	v_fma_f64 v[20:21], v[20:21], v[32:33], -v[34:35]
	;; [unrolled: 1-line block ×6, first 2 shown]
	v_fma_f64 v[14:15], v[14:15], v[48:49], v[50:51]
	v_fma_f64 v[18:19], v[18:19], v[44:45], v[46:47]
	v_add_f64 v[28:29], v[2:3], v[22:23]
	v_add_f64 v[2:3], v[2:3], -v[22:23]
	v_add_f64 v[30:31], v[10:11], v[26:27]
	v_add_f64 v[10:11], v[10:11], -v[26:27]
	;; [unrolled: 2-line block ×4, first 2 shown]
	v_add_f64 v[36:37], v[16:17], -v[12:13]
	v_add_f64 v[12:13], v[12:13], v[16:17]
	v_add_f64 v[20:21], v[14:15], v[18:19]
	v_add_f64 v[14:15], v[18:19], -v[14:15]
	v_add_f64 v[16:17], v[28:29], v[30:31]
	v_add_f64 v[42:43], v[2:3], -v[10:11]
	v_add_f64 v[18:19], v[32:33], v[34:35]
	v_add_f64 v[38:39], v[0:1], -v[8:9]
	v_add_f64 v[22:23], v[36:37], -v[0:1]
	v_add_f64 v[26:27], v[34:35], -v[12:13]
	;; [unrolled: 1-line block ×4, first 2 shown]
	v_add_f64 v[44:45], v[36:37], v[0:1]
	v_add_f64 v[36:37], v[8:9], -v[36:37]
	v_add_f64 v[46:47], v[14:15], v[2:3]
	v_add_f64 v[14:15], v[10:11], -v[14:15]
	;; [unrolled: 2-line block ×4, first 2 shown]
	v_mul_f64 v[22:23], v[22:23], s[16:17]
	v_mul_f64 v[26:27], v[26:27], s[8:9]
	;; [unrolled: 1-line block ×4, first 2 shown]
	v_add_f64 v[8:9], v[44:45], v[8:9]
	v_add_f64 v[10:11], v[46:47], v[10:11]
	;; [unrolled: 1-line block ×3, first 2 shown]
	v_add_f64 v[6:7], v[28:29], -v[30:31]
	v_mul_f64 v[28:29], v[20:21], s[2:3]
	v_mul_f64 v[30:31], v[40:41], s[16:17]
	v_add_f64 v[0:1], v[4:5], v[18:19]
	v_mul_f64 v[40:41], v[42:43], s[6:7]
	v_add_f64 v[4:5], v[32:33], -v[34:35]
	v_mul_f64 v[32:33], v[12:13], s[2:3]
	v_fma_f64 v[34:35], v[36:37], s[22:23], v[22:23]
	v_fma_f64 v[20:21], v[20:21], s[2:3], v[24:25]
	;; [unrolled: 1-line block ×3, first 2 shown]
	v_fma_f64 v[36:37], v[36:37], s[24:25], -v[48:49]
	v_fma_f64 v[22:23], v[38:39], s[6:7], -v[22:23]
	v_fma_f64 v[16:17], v[16:17], s[14:15], v[2:3]
	v_fma_f64 v[24:25], v[6:7], s[20:21], -v[24:25]
	v_fma_f64 v[6:7], v[6:7], s[18:19], -v[28:29]
	v_fma_f64 v[28:29], v[14:15], s[22:23], v[30:31]
	v_fma_f64 v[18:19], v[18:19], s[14:15], v[0:1]
	v_fma_f64 v[14:15], v[14:15], s[24:25], -v[40:41]
	v_fma_f64 v[26:27], v[4:5], s[20:21], -v[26:27]
	;; [unrolled: 1-line block ×4, first 2 shown]
	v_fma_f64 v[32:33], v[8:9], s[26:27], v[34:35]
	v_fma_f64 v[34:35], v[8:9], s[26:27], v[36:37]
	;; [unrolled: 1-line block ×3, first 2 shown]
	v_add_f64 v[20:21], v[20:21], v[16:17]
	v_add_f64 v[22:23], v[24:25], v[16:17]
	;; [unrolled: 1-line block ×3, first 2 shown]
	v_fma_f64 v[28:29], v[10:11], s[26:27], v[28:29]
	v_add_f64 v[38:39], v[12:13], v[18:19]
	v_fma_f64 v[36:37], v[10:11], s[26:27], v[14:15]
	v_add_f64 v[40:41], v[26:27], v[18:19]
	;; [unrolled: 2-line block ×3, first 2 shown]
	v_add_f64 v[26:27], v[20:21], -v[32:33]
	v_add_f64 v[6:7], v[32:33], v[20:21]
	v_add_f64 v[10:11], v[34:35], v[22:23]
	v_add_f64 v[22:23], v[22:23], -v[34:35]
	v_add_f64 v[24:25], v[28:29], v[38:39]
	v_add_f64 v[14:15], v[16:17], -v[8:9]
	v_add_f64 v[20:21], v[36:37], v[40:41]
	v_add_f64 v[18:19], v[8:9], v[16:17]
	v_add_f64 v[16:17], v[4:5], -v[30:31]
	v_add_f64 v[12:13], v[30:31], v[4:5]
	v_add_f64 v[8:9], v[40:41], -v[36:37]
	v_add_f64 v[4:5], v[38:39], -v[28:29]
	ds_write_b128 v67, v[0:3] offset:2016
	ds_write_b128 v67, v[24:27] offset:4608
	;; [unrolled: 1-line block ×7, first 2 shown]
.LBB0_19:
	s_or_b32 exec_lo, exec_lo, s28
	s_waitcnt lgkmcnt(0)
	s_barrier
	buffer_gl0_inv
	ds_read_b128 v[0:3], v67
	v_sub_nc_u32_e32 v8, 0, v59
	s_add_u32 s2, s12, 0x46c0
	s_addc_u32 s3, s13, 0
	s_mov_b32 s6, exec_lo
                                        ; implicit-def: $vgpr4_vgpr5
                                        ; implicit-def: $vgpr6_vgpr7
	v_cmpx_ne_u32_e32 0, v58
	s_xor_b32 s6, exec_lo, s6
	s_cbranch_execz .LBB0_21
; %bb.20:
	v_mov_b32_e32 v59, 0
	ds_read_b128 v[9:12], v8 offset:18144
	v_lshlrev_b64 v[4:5], 4, v[58:59]
	v_add_co_u32 v4, s1, s2, v4
	v_add_co_ci_u32_e64 v5, s1, s3, v5, s1
	global_load_dwordx4 v[4:7], v[4:5], off
	s_waitcnt lgkmcnt(0)
	v_add_f64 v[13:14], v[0:1], -v[9:10]
	v_add_f64 v[15:16], v[2:3], v[11:12]
	v_add_f64 v[2:3], v[2:3], -v[11:12]
	v_add_f64 v[0:1], v[0:1], v[9:10]
	v_mul_f64 v[11:12], v[13:14], 0.5
	v_mul_f64 v[13:14], v[15:16], 0.5
	;; [unrolled: 1-line block ×3, first 2 shown]
	s_waitcnt vmcnt(0)
	v_mul_f64 v[9:10], v[11:12], v[6:7]
	v_fma_f64 v[15:16], v[13:14], v[6:7], v[2:3]
	v_fma_f64 v[2:3], v[13:14], v[6:7], -v[2:3]
	v_fma_f64 v[6:7], v[0:1], 0.5, v[9:10]
	v_fma_f64 v[0:1], v[0:1], 0.5, -v[9:10]
	v_fma_f64 v[9:10], -v[4:5], v[11:12], v[15:16]
	v_fma_f64 v[2:3], -v[4:5], v[11:12], v[2:3]
	ds_write_b64 v67, v[9:10] offset:8
	ds_write_b64 v8, v[2:3] offset:18152
	v_fma_f64 v[6:7], v[13:14], v[4:5], v[6:7]
	v_fma_f64 v[4:5], -v[13:14], v[4:5], v[0:1]
                                        ; implicit-def: $vgpr0_vgpr1
.LBB0_21:
	s_or_saveexec_b32 s1, s6
	v_sub_nc_u32_e32 v9, 0, v63
	v_sub_nc_u32_e32 v10, 0, v66
	s_xor_b32 exec_lo, exec_lo, s1
	s_cbranch_execz .LBB0_23
; %bb.22:
	s_mov_b32 s6, 0
	v_mov_b32_e32 v13, 0
	s_mov_b32 s7, s6
	v_mov_b32_e32 v4, s6
	v_mov_b32_e32 v5, s7
	s_waitcnt lgkmcnt(0)
	v_add_f64 v[6:7], v[0:1], v[2:3]
	ds_write_b64 v67, v[4:5] offset:8
	ds_write_b64 v8, v[4:5] offset:18152
	ds_read_b64 v[11:12], v13 offset:9080
	v_add_f64 v[4:5], v[0:1], -v[2:3]
	s_waitcnt lgkmcnt(0)
	v_xor_b32_e32 v12, 0x80000000, v12
	ds_write_b64 v13, v[11:12] offset:9080
.LBB0_23:
	s_or_b32 exec_lo, exec_lo, s1
	v_mov_b32_e32 v63, 0
	ds_write_b64 v67, v[6:7]
	ds_write_b64 v8, v[4:5] offset:18144
	v_add_nc_u32_e32 v10, v69, v10
	s_waitcnt lgkmcnt(2)
	v_lshlrev_b64 v[0:1], 4, v[62:63]
	v_mov_b32_e32 v66, v63
	v_lshlrev_b64 v[11:12], 4, v[65:66]
	v_add_co_u32 v0, s1, s2, v0
	v_add_co_ci_u32_e64 v1, s1, s3, v1, s1
	v_mov_b32_e32 v65, v63
	v_add_co_u32 v11, s1, s2, v11
	global_load_dwordx4 v[0:3], v[0:1], off
	v_add_co_ci_u32_e64 v12, s1, s3, v12, s1
	v_lshlrev_b64 v[19:20], 4, v[64:65]
	global_load_dwordx4 v[11:14], v[11:12], off
	ds_read_b128 v[4:7], v70
	ds_read_b128 v[15:18], v8 offset:16128
	v_add_co_u32 v19, s1, s2, v19
	v_add_co_ci_u32_e64 v20, s1, s3, v20, s1
	global_load_dwordx4 v[19:22], v[19:20], off
	s_waitcnt lgkmcnt(0)
	v_add_f64 v[23:24], v[4:5], -v[15:16]
	v_add_f64 v[25:26], v[6:7], v[17:18]
	v_add_f64 v[6:7], v[6:7], -v[17:18]
	v_add_f64 v[4:5], v[4:5], v[15:16]
	v_mul_f64 v[17:18], v[23:24], 0.5
	v_mul_f64 v[23:24], v[25:26], 0.5
	;; [unrolled: 1-line block ×3, first 2 shown]
	s_waitcnt vmcnt(2)
	v_mul_f64 v[15:16], v[17:18], v[2:3]
	v_fma_f64 v[25:26], v[23:24], v[2:3], v[6:7]
	v_fma_f64 v[2:3], v[23:24], v[2:3], -v[6:7]
	v_fma_f64 v[6:7], v[4:5], 0.5, v[15:16]
	v_fma_f64 v[15:16], v[4:5], 0.5, -v[15:16]
	v_fma_f64 v[4:5], -v[0:1], v[17:18], v[25:26]
	v_fma_f64 v[17:18], -v[0:1], v[17:18], v[2:3]
	v_fma_f64 v[2:3], v[23:24], v[0:1], v[6:7]
	v_fma_f64 v[15:16], -v[23:24], v[0:1], v[15:16]
	ds_write_b128 v70, v[2:5]
	ds_write_b128 v8, v[15:18] offset:16128
	ds_read_b128 v[0:3], v10
	ds_read_b128 v[4:7], v8 offset:14112
	s_waitcnt lgkmcnt(0)
	v_add_f64 v[15:16], v[0:1], -v[4:5]
	v_add_f64 v[17:18], v[2:3], v[6:7]
	v_add_f64 v[2:3], v[2:3], -v[6:7]
	v_add_f64 v[0:1], v[0:1], v[4:5]
	v_mul_f64 v[6:7], v[15:16], 0.5
	v_mul_f64 v[15:16], v[17:18], 0.5
	;; [unrolled: 1-line block ×3, first 2 shown]
	s_waitcnt vmcnt(1)
	v_mul_f64 v[4:5], v[6:7], v[13:14]
	v_fma_f64 v[17:18], v[15:16], v[13:14], v[2:3]
	v_fma_f64 v[13:14], v[15:16], v[13:14], -v[2:3]
	v_fma_f64 v[23:24], v[0:1], 0.5, v[4:5]
	v_fma_f64 v[4:5], v[0:1], 0.5, -v[4:5]
	v_fma_f64 v[2:3], -v[11:12], v[6:7], v[17:18]
	v_fma_f64 v[6:7], -v[11:12], v[6:7], v[13:14]
	v_add_nc_u32_e32 v17, v68, v9
	v_fma_f64 v[0:1], v[15:16], v[11:12], v[23:24]
	v_fma_f64 v[4:5], -v[15:16], v[11:12], v[4:5]
	ds_write_b128 v10, v[0:3]
	ds_write_b128 v8, v[4:7] offset:14112
	ds_read_b128 v[0:3], v17
	ds_read_b128 v[4:7], v8 offset:12096
	s_waitcnt lgkmcnt(0)
	v_add_f64 v[9:10], v[0:1], -v[4:5]
	v_add_f64 v[11:12], v[2:3], v[6:7]
	v_add_f64 v[2:3], v[2:3], -v[6:7]
	v_add_f64 v[0:1], v[0:1], v[4:5]
	v_mul_f64 v[6:7], v[9:10], 0.5
	v_mul_f64 v[9:10], v[11:12], 0.5
	;; [unrolled: 1-line block ×3, first 2 shown]
	s_waitcnt vmcnt(0)
	v_mul_f64 v[4:5], v[6:7], v[21:22]
	v_fma_f64 v[11:12], v[9:10], v[21:22], v[2:3]
	v_fma_f64 v[13:14], v[9:10], v[21:22], -v[2:3]
	v_fma_f64 v[15:16], v[0:1], 0.5, v[4:5]
	v_fma_f64 v[4:5], v[0:1], 0.5, -v[4:5]
	v_fma_f64 v[2:3], -v[19:20], v[6:7], v[11:12]
	v_fma_f64 v[6:7], -v[19:20], v[6:7], v[13:14]
	v_fma_f64 v[0:1], v[9:10], v[19:20], v[15:16]
	v_fma_f64 v[4:5], -v[9:10], v[19:20], v[4:5]
	ds_write_b128 v17, v[0:3]
	ds_write_b128 v8, v[4:7] offset:12096
	s_and_saveexec_b32 s1, s0
	s_cbranch_execz .LBB0_25
; %bb.24:
	v_add_nc_u32_e32 v62, 0x1f8, v58
	v_lshlrev_b64 v[0:1], 4, v[62:63]
	v_add_co_u32 v0, s0, s2, v0
	v_add_co_ci_u32_e64 v1, s0, s3, v1, s0
	global_load_dwordx4 v[0:3], v[0:1], off
	ds_read_b128 v[4:7], v67 offset:8064
	ds_read_b128 v[9:12], v8 offset:10080
	s_waitcnt lgkmcnt(0)
	v_add_f64 v[13:14], v[4:5], -v[9:10]
	v_add_f64 v[15:16], v[6:7], v[11:12]
	v_add_f64 v[6:7], v[6:7], -v[11:12]
	v_add_f64 v[4:5], v[4:5], v[9:10]
	v_mul_f64 v[11:12], v[13:14], 0.5
	v_mul_f64 v[13:14], v[15:16], 0.5
	;; [unrolled: 1-line block ×3, first 2 shown]
	s_waitcnt vmcnt(0)
	v_mul_f64 v[9:10], v[11:12], v[2:3]
	v_fma_f64 v[15:16], v[13:14], v[2:3], v[6:7]
	v_fma_f64 v[2:3], v[13:14], v[2:3], -v[6:7]
	v_fma_f64 v[6:7], v[4:5], 0.5, v[9:10]
	v_fma_f64 v[9:10], v[4:5], 0.5, -v[9:10]
	v_fma_f64 v[4:5], -v[0:1], v[11:12], v[15:16]
	v_fma_f64 v[11:12], -v[0:1], v[11:12], v[2:3]
	v_fma_f64 v[2:3], v[13:14], v[0:1], v[6:7]
	v_fma_f64 v[9:10], -v[13:14], v[0:1], v[9:10]
	ds_write_b128 v67, v[2:5] offset:8064
	ds_write_b128 v8, v[9:12] offset:10080
.LBB0_25:
	s_or_b32 exec_lo, exec_lo, s1
	s_waitcnt lgkmcnt(0)
	s_barrier
	buffer_gl0_inv
	s_and_saveexec_b32 s0, vcc_lo
	s_cbranch_execz .LBB0_28
; %bb.26:
	v_mul_lo_u32 v2, s5, v60
	v_mul_lo_u32 v3, s4, v61
	v_mad_u64_u32 v[0:1], null, s4, v60, 0
	v_lshl_add_u32 v24, v58, 4, 0
	v_mov_b32_e32 v59, 0
	v_lshlrev_b64 v[10:11], 4, v[56:57]
	v_add_nc_u32_e32 v12, 0x7e, v58
	v_add_nc_u32_e32 v14, 0xfc, v58
	;; [unrolled: 1-line block ×3, first 2 shown]
	v_add3_u32 v1, v1, v3, v2
	ds_read_b128 v[2:5], v24
	ds_read_b128 v[6:9], v24 offset:2016
	v_mov_b32_e32 v13, v59
	v_lshlrev_b64 v[15:16], 4, v[58:59]
	v_mov_b32_e32 v17, v59
	v_lshlrev_b64 v[0:1], 4, v[0:1]
	v_mov_b32_e32 v19, v59
	v_add_nc_u32_e32 v20, 0x276, v58
	v_mov_b32_e32 v21, v59
	v_mov_b32_e32 v25, v59
	v_add_co_u32 v0, vcc_lo, s10, v0
	v_add_co_ci_u32_e32 v1, vcc_lo, s11, v1, vcc_lo
	v_lshlrev_b64 v[18:19], 4, v[18:19]
	v_add_co_u32 v0, vcc_lo, v0, v10
	v_add_co_ci_u32_e32 v1, vcc_lo, v1, v11, vcc_lo
	v_lshlrev_b64 v[10:11], 4, v[12:13]
	v_add_co_u32 v12, vcc_lo, v0, v15
	v_add_co_ci_u32_e32 v13, vcc_lo, v1, v16, vcc_lo
	v_mov_b32_e32 v15, v59
	v_add_co_u32 v10, vcc_lo, v0, v10
	v_add_co_ci_u32_e32 v11, vcc_lo, v1, v11, vcc_lo
	s_waitcnt lgkmcnt(1)
	global_store_dwordx4 v[12:13], v[2:5], off
	v_add_nc_u32_e32 v16, 0x17a, v58
	v_lshlrev_b64 v[14:15], 4, v[14:15]
	s_waitcnt lgkmcnt(0)
	global_store_dwordx4 v[10:11], v[6:9], off
	ds_read_b128 v[2:5], v24 offset:4032
	ds_read_b128 v[6:9], v24 offset:6048
	;; [unrolled: 1-line block ×3, first 2 shown]
	v_lshlrev_b64 v[16:17], 4, v[16:17]
	v_add_co_u32 v14, vcc_lo, v0, v14
	v_add_co_ci_u32_e32 v15, vcc_lo, v1, v15, vcc_lo
	v_add_co_u32 v16, vcc_lo, v0, v16
	v_add_co_ci_u32_e32 v17, vcc_lo, v1, v17, vcc_lo
	v_add_co_u32 v18, vcc_lo, v0, v18
	v_add_co_ci_u32_e32 v19, vcc_lo, v1, v19, vcc_lo
	s_waitcnt lgkmcnt(2)
	global_store_dwordx4 v[14:15], v[2:5], off
	s_waitcnt lgkmcnt(1)
	global_store_dwordx4 v[16:17], v[6:9], off
	v_lshlrev_b64 v[6:7], 4, v[20:21]
	v_add_nc_u32_e32 v8, 0x2f4, v58
	v_mov_b32_e32 v9, v59
	v_add_nc_u32_e32 v14, 0x372, v58
	v_mov_b32_e32 v15, v59
	s_waitcnt lgkmcnt(0)
	global_store_dwordx4 v[18:19], v[10:13], off
	v_add_co_u32 v18, vcc_lo, v0, v6
	ds_read_b128 v[2:5], v24 offset:10080
	v_add_co_ci_u32_e32 v19, vcc_lo, v1, v7, vcc_lo
	v_lshlrev_b64 v[20:21], 4, v[8:9]
	ds_read_b128 v[6:9], v24 offset:12096
	ds_read_b128 v[10:13], v24 offset:14112
	v_lshlrev_b64 v[22:23], 4, v[14:15]
	ds_read_b128 v[14:17], v24 offset:16128
	v_add_nc_u32_e32 v24, 0x3f0, v58
	v_add_co_u32 v20, vcc_lo, v0, v20
	v_add_co_ci_u32_e32 v21, vcc_lo, v1, v21, vcc_lo
	v_lshlrev_b64 v[24:25], 4, v[24:25]
	v_add_co_u32 v22, vcc_lo, v0, v22
	v_add_co_ci_u32_e32 v23, vcc_lo, v1, v23, vcc_lo
	v_add_co_u32 v24, vcc_lo, v0, v24
	v_add_co_ci_u32_e32 v25, vcc_lo, v1, v25, vcc_lo
	v_cmp_eq_u32_e32 vcc_lo, 0x7d, v58
	s_waitcnt lgkmcnt(3)
	global_store_dwordx4 v[18:19], v[2:5], off
	s_waitcnt lgkmcnt(2)
	global_store_dwordx4 v[20:21], v[6:9], off
	;; [unrolled: 2-line block ×4, first 2 shown]
	s_and_b32 exec_lo, exec_lo, vcc_lo
	s_cbranch_execz .LBB0_28
; %bb.27:
	ds_read_b128 v[2:5], v59 offset:18144
	v_add_co_u32 v0, vcc_lo, 0x4000, v0
	v_add_co_ci_u32_e32 v1, vcc_lo, 0, v1, vcc_lo
	s_waitcnt lgkmcnt(0)
	global_store_dwordx4 v[0:1], v[2:5], off offset:1760
.LBB0_28:
	s_endpgm
	.section	.rodata,"a",@progbits
	.p2align	6, 0x0
	.amdhsa_kernel fft_rtc_fwd_len1134_factors_2_3_3_3_3_7_wgs_126_tpt_126_dp_op_CI_CI_unitstride_sbrr_R2C_dirReg
		.amdhsa_group_segment_fixed_size 0
		.amdhsa_private_segment_fixed_size 0
		.amdhsa_kernarg_size 104
		.amdhsa_user_sgpr_count 6
		.amdhsa_user_sgpr_private_segment_buffer 1
		.amdhsa_user_sgpr_dispatch_ptr 0
		.amdhsa_user_sgpr_queue_ptr 0
		.amdhsa_user_sgpr_kernarg_segment_ptr 1
		.amdhsa_user_sgpr_dispatch_id 0
		.amdhsa_user_sgpr_flat_scratch_init 0
		.amdhsa_user_sgpr_private_segment_size 0
		.amdhsa_wavefront_size32 1
		.amdhsa_uses_dynamic_stack 0
		.amdhsa_system_sgpr_private_segment_wavefront_offset 0
		.amdhsa_system_sgpr_workgroup_id_x 1
		.amdhsa_system_sgpr_workgroup_id_y 0
		.amdhsa_system_sgpr_workgroup_id_z 0
		.amdhsa_system_sgpr_workgroup_info 0
		.amdhsa_system_vgpr_workitem_id 0
		.amdhsa_next_free_vgpr 107
		.amdhsa_next_free_sgpr 29
		.amdhsa_reserve_vcc 1
		.amdhsa_reserve_flat_scratch 0
		.amdhsa_float_round_mode_32 0
		.amdhsa_float_round_mode_16_64 0
		.amdhsa_float_denorm_mode_32 3
		.amdhsa_float_denorm_mode_16_64 3
		.amdhsa_dx10_clamp 1
		.amdhsa_ieee_mode 1
		.amdhsa_fp16_overflow 0
		.amdhsa_workgroup_processor_mode 1
		.amdhsa_memory_ordered 1
		.amdhsa_forward_progress 0
		.amdhsa_shared_vgpr_count 0
		.amdhsa_exception_fp_ieee_invalid_op 0
		.amdhsa_exception_fp_denorm_src 0
		.amdhsa_exception_fp_ieee_div_zero 0
		.amdhsa_exception_fp_ieee_overflow 0
		.amdhsa_exception_fp_ieee_underflow 0
		.amdhsa_exception_fp_ieee_inexact 0
		.amdhsa_exception_int_div_zero 0
	.end_amdhsa_kernel
	.text
.Lfunc_end0:
	.size	fft_rtc_fwd_len1134_factors_2_3_3_3_3_7_wgs_126_tpt_126_dp_op_CI_CI_unitstride_sbrr_R2C_dirReg, .Lfunc_end0-fft_rtc_fwd_len1134_factors_2_3_3_3_3_7_wgs_126_tpt_126_dp_op_CI_CI_unitstride_sbrr_R2C_dirReg
                                        ; -- End function
	.section	.AMDGPU.csdata,"",@progbits
; Kernel info:
; codeLenInByte = 10272
; NumSgprs: 31
; NumVgprs: 107
; ScratchSize: 0
; MemoryBound: 0
; FloatMode: 240
; IeeeMode: 1
; LDSByteSize: 0 bytes/workgroup (compile time only)
; SGPRBlocks: 3
; VGPRBlocks: 13
; NumSGPRsForWavesPerEU: 31
; NumVGPRsForWavesPerEU: 107
; Occupancy: 9
; WaveLimiterHint : 1
; COMPUTE_PGM_RSRC2:SCRATCH_EN: 0
; COMPUTE_PGM_RSRC2:USER_SGPR: 6
; COMPUTE_PGM_RSRC2:TRAP_HANDLER: 0
; COMPUTE_PGM_RSRC2:TGID_X_EN: 1
; COMPUTE_PGM_RSRC2:TGID_Y_EN: 0
; COMPUTE_PGM_RSRC2:TGID_Z_EN: 0
; COMPUTE_PGM_RSRC2:TIDIG_COMP_CNT: 0
	.text
	.p2alignl 6, 3214868480
	.fill 48, 4, 3214868480
	.type	__hip_cuid_78bb14e4a8ef1284,@object ; @__hip_cuid_78bb14e4a8ef1284
	.section	.bss,"aw",@nobits
	.globl	__hip_cuid_78bb14e4a8ef1284
__hip_cuid_78bb14e4a8ef1284:
	.byte	0                               ; 0x0
	.size	__hip_cuid_78bb14e4a8ef1284, 1

	.ident	"AMD clang version 19.0.0git (https://github.com/RadeonOpenCompute/llvm-project roc-6.4.0 25133 c7fe45cf4b819c5991fe208aaa96edf142730f1d)"
	.section	".note.GNU-stack","",@progbits
	.addrsig
	.addrsig_sym __hip_cuid_78bb14e4a8ef1284
	.amdgpu_metadata
---
amdhsa.kernels:
  - .args:
      - .actual_access:  read_only
        .address_space:  global
        .offset:         0
        .size:           8
        .value_kind:     global_buffer
      - .offset:         8
        .size:           8
        .value_kind:     by_value
      - .actual_access:  read_only
        .address_space:  global
        .offset:         16
        .size:           8
        .value_kind:     global_buffer
      - .actual_access:  read_only
        .address_space:  global
        .offset:         24
        .size:           8
        .value_kind:     global_buffer
      - .actual_access:  read_only
        .address_space:  global
        .offset:         32
        .size:           8
        .value_kind:     global_buffer
      - .offset:         40
        .size:           8
        .value_kind:     by_value
      - .actual_access:  read_only
        .address_space:  global
        .offset:         48
        .size:           8
        .value_kind:     global_buffer
      - .actual_access:  read_only
        .address_space:  global
        .offset:         56
        .size:           8
        .value_kind:     global_buffer
      - .offset:         64
        .size:           4
        .value_kind:     by_value
      - .actual_access:  read_only
        .address_space:  global
        .offset:         72
        .size:           8
        .value_kind:     global_buffer
      - .actual_access:  read_only
        .address_space:  global
        .offset:         80
        .size:           8
        .value_kind:     global_buffer
      - .actual_access:  read_only
        .address_space:  global
        .offset:         88
        .size:           8
        .value_kind:     global_buffer
      - .actual_access:  write_only
        .address_space:  global
        .offset:         96
        .size:           8
        .value_kind:     global_buffer
    .group_segment_fixed_size: 0
    .kernarg_segment_align: 8
    .kernarg_segment_size: 104
    .language:       OpenCL C
    .language_version:
      - 2
      - 0
    .max_flat_workgroup_size: 126
    .name:           fft_rtc_fwd_len1134_factors_2_3_3_3_3_7_wgs_126_tpt_126_dp_op_CI_CI_unitstride_sbrr_R2C_dirReg
    .private_segment_fixed_size: 0
    .sgpr_count:     31
    .sgpr_spill_count: 0
    .symbol:         fft_rtc_fwd_len1134_factors_2_3_3_3_3_7_wgs_126_tpt_126_dp_op_CI_CI_unitstride_sbrr_R2C_dirReg.kd
    .uniform_work_group_size: 1
    .uses_dynamic_stack: false
    .vgpr_count:     107
    .vgpr_spill_count: 0
    .wavefront_size: 32
    .workgroup_processor_mode: 1
amdhsa.target:   amdgcn-amd-amdhsa--gfx1030
amdhsa.version:
  - 1
  - 2
...

	.end_amdgpu_metadata
